;; amdgpu-corpus repo=ROCm/rocFFT kind=compiled arch=gfx950 opt=O3
	.text
	.amdgcn_target "amdgcn-amd-amdhsa--gfx950"
	.amdhsa_code_object_version 6
	.protected	bluestein_single_back_len11_dim1_sp_op_CI_CI ; -- Begin function bluestein_single_back_len11_dim1_sp_op_CI_CI
	.globl	bluestein_single_back_len11_dim1_sp_op_CI_CI
	.p2align	8
	.type	bluestein_single_back_len11_dim1_sp_op_CI_CI,@function
bluestein_single_back_len11_dim1_sp_op_CI_CI: ; @bluestein_single_back_len11_dim1_sp_op_CI_CI
; %bb.0:
	s_load_dwordx4 s[8:11], s[0:1], 0x28
	v_lshl_or_b32 v4, s2, 7, v0
	v_mov_b32_e32 v5, 0
	s_waitcnt lgkmcnt(0)
	v_cmp_gt_u64_e32 vcc, s[8:9], v[4:5]
	s_and_saveexec_b64 s[2:3], vcc
	s_cbranch_execz .LBB0_2
; %bb.1:
	s_load_dwordx4 s[4:7], s[0:1], 0x18
	s_load_dwordx2 s[56:57], s[0:1], 0x0
	v_mov_b32_e32 v2, s10
	v_mov_b32_e32 v3, s11
	;; [unrolled: 1-line block ×3, first 2 shown]
	s_waitcnt lgkmcnt(0)
	s_load_dwordx4 s[12:15], s[4:5], 0x0
	v_mov_b32_e32 v34, 0x50
	v_mul_u32_u24_e32 v35, 0x58, v0
	s_mov_b32 s34, 0xbf0a6770
	s_mov_b32 s35, 0x3f575c64
	s_waitcnt lgkmcnt(0)
	v_mad_u64_u32 v[6:7], s[2:3], s14, v4, 0
	v_mov_b32_e32 v8, v7
	v_mad_u64_u32 v[8:9], s[2:3], s15, v4, v[8:9]
	v_mov_b32_e32 v7, v8
	v_lshl_add_u64 v[2:3], v[6:7], 3, v[2:3]
	s_lshl_b64 s[2:3], s[12:13], 5
	v_lshl_add_u64 v[8:9], s[12:13], 3, v[2:3]
	v_lshl_add_u64 v[12:13], v[2:3], 0, s[2:3]
	v_mad_u64_u32 v[14:15], s[2:3], s12, 24, v[2:3]
	global_load_dwordx2 v[6:7], v[2:3], off
	v_mov_b32_e32 v18, v15
	global_load_dwordx2 v[8:9], v[8:9], off
	v_mad_u64_u32 v[18:19], s[2:3], s13, 24, v[18:19]
	v_lshl_add_u64 v[10:11], s[12:13], 4, v[2:3]
	global_load_dwordx2 v[10:11], v[10:11], off
	v_mad_u64_u32 v[16:17], s[2:3], s12, 40, v[2:3]
	global_load_dwordx2 v[12:13], v[12:13], off
	v_mov_b32_e32 v15, v18
	v_mov_b32_e32 v20, v17
	global_load_dwordx2 v[14:15], v[14:15], off
	v_mad_u64_u32 v[20:21], s[2:3], s13, 40, v[20:21]
	v_mov_b32_e32 v17, v20
	global_load_dwordx2 v[16:17], v[16:17], off
	v_mad_u64_u32 v[18:19], s[2:3], s12, 48, v[2:3]
	v_mad_u64_u32 v[20:21], s[2:3], s12, 56, v[2:3]
	v_mov_b32_e32 v22, v19
	v_mov_b32_e32 v24, v21
	v_mad_u64_u32 v[22:23], s[2:3], s13, 48, v[22:23]
	v_mad_u64_u32 v[24:25], s[2:3], s13, 56, v[24:25]
	v_mov_b32_e32 v19, v22
	v_mov_b32_e32 v21, v24
	global_load_dwordx2 v[22:23], v[18:19], off
	global_load_dwordx2 v[24:25], v[20:21], off
	s_lshl_b64 s[2:3], s[12:13], 6
	s_mul_i32 s4, s13, 0x48
	v_lshl_add_u64 v[18:19], v[2:3], 0, s[2:3]
	v_mad_u64_u32 v[20:21], s[2:3], s12, v5, v[2:3]
	v_add_u32_e32 v21, s4, v21
	global_load_dwordx2 v[26:27], v[20:21], off
	global_load_dwordx2 v[28:29], v[18:19], off
	s_mul_i32 s4, s13, 0x50
	v_mad_u64_u32 v[0:1], s[2:3], s12, v34, v[2:3]
	v_add_u32_e32 v1, s4, v1
	s_load_dwordx4 s[28:31], s[6:7], 0x0
	s_load_dwordx16 s[36:51], s[56:57], 0x0
	global_load_dwordx2 v[0:1], v[0:1], off
	s_mov_b32 s22, s35
	s_mov_b32 s23, s34
	;; [unrolled: 1-line block ×3, first 2 shown]
	s_waitcnt lgkmcnt(0)
	s_mov_b32 s2, s39
	s_mov_b32 s4, s43
	;; [unrolled: 1-line block ×24, first 2 shown]
	s_load_dwordx2 s[0:1], s[0:1], 0x38
	s_waitcnt vmcnt(10)
	v_pk_mul_f32 v[2:3], v[6:7], s[36:37] op_sel_hi:[1,0]
	v_pk_mul_f32 v[6:7], v[6:7], s[36:37] op_sel:[0,1]
	s_waitcnt vmcnt(9)
	v_pk_mul_f32 v[18:19], v[8:9], s[38:39] op_sel_hi:[1,0]
	v_pk_mul_f32 v[8:9], v[8:9], s[2:3] op_sel_hi:[1,0]
	v_mov_b32_e32 v20, v7
	v_sub_f32_e32 v7, v3, v6
	v_mov_b32_e32 v21, v9
	v_mov_b32_e32 v3, v18
	v_pk_add_f32 v[2:3], v[2:3], v[20:21]
	s_waitcnt vmcnt(8)
	v_pk_mul_f32 v[30:31], v[10:11], s[40:41] op_sel_hi:[1,0]
	v_pk_mul_f32 v[10:11], v[10:11], s[6:7] op_sel_hi:[1,0]
	v_sub_f32_e32 v9, v19, v8
	v_mov_b32_e32 v6, v2
	v_mov_b32_e32 v8, v3
	s_waitcnt vmcnt(6)
	v_pk_mul_f32 v[2:3], v[14:15], s[42:43] op_sel_hi:[1,0]
	v_pk_mul_f32 v[14:15], v[14:15], s[4:5] op_sel_hi:[1,0]
	v_mov_b32_e32 v18, v11
	v_sub_f32_e32 v11, v31, v10
	v_mov_b32_e32 v19, v15
	v_mov_b32_e32 v31, v2
	ds_write2_b64 v35, v[6:7], v[8:9] offset1:1
	v_pk_add_f32 v[6:7], v[30:31], v[18:19]
	v_pk_mul_f32 v[32:33], v[12:13], s[44:45] op_sel_hi:[1,0]
	v_pk_mul_f32 v[12:13], v[12:13], s[10:11] op_sel_hi:[1,0]
	s_waitcnt vmcnt(5)
	v_pk_mul_f32 v[20:21], v[16:17], s[46:47] op_sel_hi:[1,0]
	v_pk_mul_f32 v[16:17], v[16:17], s[8:9] op_sel_hi:[1,0]
	v_sub_f32_e32 v3, v3, v14
	v_mov_b32_e32 v10, v6
	v_mov_b32_e32 v2, v7
	;; [unrolled: 1-line block ×3, first 2 shown]
	ds_write2_b64 v35, v[10:11], v[2:3] offset0:2 offset1:3
	v_mov_b32_e32 v37, v17
	v_mov_b32_e32 v2, v32
	;; [unrolled: 1-line block ×3, first 2 shown]
	v_pk_add_f32 v[2:3], v[2:3], v[36:37]
	v_sub_f32_e32 v7, v21, v16
	v_sub_f32_e32 v9, v33, v12
	v_mov_b32_e32 v8, v2
	v_mov_b32_e32 v6, v3
	s_mov_b32 s2, s49
	s_load_dwordx16 s[4:19], s[56:57], 0x40
	ds_write2_b64 v35, v[8:9], v[6:7] offset0:4 offset1:5
	s_waitcnt vmcnt(4)
	v_pk_mul_f32 v[8:9], v[22:23], s[2:3] op_sel_hi:[1,0]
	s_mov_b32 s2, s51
	v_pk_mul_f32 v[2:3], v[22:23], s[48:49] op_sel_hi:[1,0]
	s_waitcnt vmcnt(3)
	v_pk_mul_f32 v[6:7], v[24:25], s[50:51] op_sel_hi:[1,0]
	v_pk_mul_f32 v[10:11], v[24:25], s[2:3] op_sel_hi:[1,0]
	v_mov_b32_e32 v12, v9
	v_mov_b32_e32 v13, v11
	v_mov_b32_e32 v14, v2
	v_mov_b32_e32 v15, v6
	v_pk_add_f32 v[12:13], v[14:15], v[12:13]
	v_sub_f32_e32 v7, v7, v10
	v_sub_f32_e32 v3, v3, v8
	v_mov_b32_e32 v2, v12
	v_mov_b32_e32 v6, v13
	s_waitcnt lgkmcnt(0)
	s_mov_b32 s2, s7
	ds_write2_b64 v35, v[2:3], v[6:7] offset0:6 offset1:7
	s_waitcnt vmcnt(2)
	v_pk_mul_f32 v[2:3], v[26:27], s[6:7] op_sel_hi:[1,0]
	s_waitcnt vmcnt(1)
	v_pk_mul_f32 v[6:7], v[28:29], s[4:5] op_sel_hi:[1,0]
	v_pk_mul_f32 v[8:9], v[26:27], s[2:3] op_sel_hi:[1,0]
	v_pk_mul_f32 v[10:11], v[28:29], s[4:5] op_sel:[0,1]
	v_mov_b32_e32 v13, v9
	v_mov_b32_e32 v12, v11
	;; [unrolled: 1-line block ×4, first 2 shown]
	v_pk_add_f32 v[12:13], v[14:15], v[12:13]
	v_sub_f32_e32 v3, v3, v8
	v_sub_f32_e32 v7, v7, v10
	v_mov_b32_e32 v6, v12
	v_mov_b32_e32 v2, v13
	ds_write2_b64 v35, v[6:7], v[2:3] offset0:8 offset1:9
	s_waitcnt vmcnt(0)
	v_mul_f32_e32 v2, s9, v1
	v_fmac_f32_e32 v2, s8, v0
	v_mul_f32_e32 v0, s9, v0
	v_fma_f32 v3, v1, s8, -v0
	ds_write_b64 v35, v[2:3] offset:80
	s_waitcnt lgkmcnt(0)
	s_barrier
	ds_read2_b64 v[0:3], v35 offset1:1
	ds_read2_b64 v[6:9], v35 offset0:2 offset1:3
	ds_read2_b64 v[10:13], v35 offset0:4 offset1:5
	;; [unrolled: 1-line block ×4, first 2 shown]
	ds_read_b64 v[22:23], v35 offset:80
	s_waitcnt lgkmcnt(5)
	v_pk_add_f32 v[24:25], v[0:1], v[2:3]
	s_mov_b32 s2, 0xbf7d64f0
	s_waitcnt lgkmcnt(4)
	v_pk_add_f32 v[24:25], v[24:25], v[6:7]
	s_waitcnt lgkmcnt(1)
	v_pk_add_f32 v[42:43], v[18:19], v[8:9]
	v_pk_add_f32 v[24:25], v[24:25], v[8:9]
	s_waitcnt lgkmcnt(0)
	v_pk_add_f32 v[38:39], v[22:23], v[2:3]
	v_pk_add_f32 v[24:25], v[24:25], v[10:11]
	;; [unrolled: 1-line block ×8, first 2 shown]
	v_pk_add_f32 v[30:31], v[12:13], v[14:15] neg_lo:[0,1] neg_hi:[0,1]
	v_pk_add_f32 v[24:25], v[24:25], v[18:19]
	v_pk_add_f32 v[18:19], v[8:9], v[18:19] neg_lo:[0,1] neg_hi:[0,1]
	v_pk_add_f32 v[24:25], v[24:25], v[20:21]
	;; [unrolled: 2-line block ×3, first 2 shown]
	v_pk_add_f32 v[22:23], v[2:3], v[22:23] neg_lo:[0,1] neg_hi:[0,1]
	v_mov_b32_e32 v3, v39
	v_mov_b32_e32 v39, v22
	;; [unrolled: 1-line block ×3, first 2 shown]
	v_pk_mul_f32 v[8:9], v[38:39], s[22:23]
	v_pk_add_f32 v[24:25], v[10:11], v[16:17] neg_lo:[0,1] neg_hi:[0,1]
	v_pk_fma_f32 v[10:11], v[2:3], s[34:35], v[8:9] neg_lo:[1,0,0] neg_hi:[1,0,0]
	v_pk_fma_f32 v[6:7], v[2:3], s[34:35], v[8:9]
	s_mov_b32 s3, 0xbe11bafb
	v_mov_b32_e32 v11, v7
	v_pk_add_f32 v[16:17], v[0:1], v[10:11]
	v_mov_b32_e32 v11, v41
	v_mov_b32_e32 v41, v20
	;; [unrolled: 1-line block ×3, first 2 shown]
	v_pk_mul_f32 v[14:15], v[40:41], s[58:59]
	s_mov_b32 s20, s3
	v_pk_fma_f32 v[20:21], v[10:11], s[60:61], v[14:15] neg_lo:[1,0,0] neg_hi:[1,0,0]
	v_pk_fma_f32 v[12:13], v[10:11], s[60:61], v[14:15]
	s_mov_b32 s21, s2
	v_mov_b32_e32 v21, v13
	v_pk_add_f32 v[22:23], v[20:21], v[16:17]
	v_mov_b32_e32 v17, v43
	v_mov_b32_e32 v43, v18
	;; [unrolled: 1-line block ×3, first 2 shown]
	v_pk_mul_f32 v[20:21], v[42:43], s[20:21]
	v_pk_mul_f32 v[52:53], v[40:41], s[24:25]
	v_pk_fma_f32 v[26:27], v[16:17], s[2:3], v[20:21] neg_lo:[1,0,0] neg_hi:[1,0,0]
	v_pk_fma_f32 v[18:19], v[16:17], s[2:3], v[20:21]
	v_pk_fma_f32 v[54:55], v[10:11], s[52:53], v[52:53] neg_lo:[1,0,0] neg_hi:[1,0,0]
	v_mov_b32_e32 v27, v19
	v_pk_add_f32 v[28:29], v[26:27], v[22:23]
	v_mov_b32_e32 v23, v45
	v_mov_b32_e32 v45, v24
	;; [unrolled: 1-line block ×3, first 2 shown]
	v_pk_mul_f32 v[26:27], v[44:45], s[24:25]
	v_pk_fma_f32 v[56:57], v[10:11], s[52:53], v[52:53]
	v_pk_fma_f32 v[32:33], v[22:23], s[52:53], v[26:27] neg_lo:[1,0,0] neg_hi:[1,0,0]
	v_pk_fma_f32 v[24:25], v[22:23], s[52:53], v[26:27]
	v_mov_b32_e32 v55, v57
	v_mov_b32_e32 v33, v25
	v_pk_add_f32 v[48:49], v[32:33], v[28:29]
	v_mov_b32_e32 v29, v47
	v_mov_b32_e32 v47, v30
	;; [unrolled: 1-line block ×3, first 2 shown]
	v_pk_mul_f32 v[32:33], v[46:47], s[26:27]
	s_mov_b32 s68, s3
	v_pk_fma_f32 v[50:51], v[28:29], s[54:55], v[32:33] neg_lo:[1,0,0] neg_hi:[1,0,0]
	v_pk_fma_f32 v[30:31], v[28:29], s[54:55], v[32:33]
	s_mov_b32 s65, s3
	v_mov_b32_e32 v51, v31
	v_pk_add_f32 v[48:49], v[50:51], v[48:49]
	ds_write2_b64 v35, v[36:37], v[48:49] offset1:1
	v_pk_mul_f32 v[36:37], v[38:39], s[58:59]
	s_mov_b32 s58, 0x3f0a6770
	v_pk_fma_f32 v[48:49], v[2:3], s[60:61], v[36:37] neg_lo:[1,0,0] neg_hi:[1,0,0]
	v_pk_fma_f32 v[50:51], v[2:3], s[60:61], v[36:37]
	s_mov_b32 s71, s58
	v_mov_b32_e32 v49, v51
	v_pk_add_f32 v[48:49], v[0:1], v[48:49]
	s_mov_b32 s59, s35
	v_pk_add_f32 v[48:49], v[54:55], v[48:49]
	v_pk_mul_f32 v[54:55], v[42:43], s[62:63]
	v_pk_mul_f32 v[74:75], v[40:41], s[62:63]
	v_pk_fma_f32 v[58:59], v[16:17], s[66:67], v[54:55] neg_lo:[1,0,0] neg_hi:[1,0,0]
	v_pk_fma_f32 v[60:61], v[16:17], s[66:67], v[54:55]
	v_pk_fma_f32 v[76:77], v[10:11], s[66:67], v[74:75] neg_lo:[1,0,0] neg_hi:[1,0,0]
	v_mov_b32_e32 v59, v61
	v_pk_add_f32 v[48:49], v[58:59], v[48:49]
	v_pk_mul_f32 v[58:59], v[44:45], s[68:69]
	v_pk_fma_f32 v[78:79], v[10:11], s[66:67], v[74:75]
	v_pk_fma_f32 v[62:63], v[22:23], s[64:65], v[58:59] neg_lo:[1,0,0] neg_hi:[1,0,0]
	v_pk_fma_f32 v[64:65], v[22:23], s[64:65], v[58:59]
	s_mov_b32 s62, 0x3f68dda4
	v_mov_b32_e32 v63, v65
	v_pk_add_f32 v[48:49], v[62:63], v[48:49]
	v_pk_mul_f32 v[62:63], v[46:47], s[70:71]
	v_mov_b32_e32 v77, v79
	v_pk_fma_f32 v[66:67], v[28:29], s[58:59], v[62:63] neg_lo:[1,0,0] neg_hi:[1,0,0]
	v_pk_fma_f32 v[68:69], v[28:29], s[58:59], v[62:63]
	s_mov_b32 s73, s62
	v_mov_b32_e32 v67, v69
	v_pk_add_f32 v[48:49], v[66:67], v[48:49]
	v_pk_mul_f32 v[66:67], v[38:39], s[20:21]
	s_mov_b32 s63, s61
	v_pk_fma_f32 v[70:71], v[2:3], s[2:3], v[66:67] neg_lo:[1,0,0] neg_hi:[1,0,0]
	v_pk_fma_f32 v[72:73], v[2:3], s[2:3], v[66:67]
	v_pk_mul_f32 v[92:93], v[40:41], s[68:69]
	v_mov_b32_e32 v71, v73
	v_pk_add_f32 v[70:71], v[0:1], v[70:71]
	v_pk_fma_f32 v[94:95], v[10:11], s[64:65], v[92:93] neg_lo:[1,0,0] neg_hi:[1,0,0]
	v_pk_add_f32 v[70:71], v[76:77], v[70:71]
	v_pk_mul_f32 v[76:77], v[42:43], s[72:73]
	v_pk_fma_f32 v[96:97], v[10:11], s[64:65], v[92:93]
	v_pk_fma_f32 v[80:81], v[16:17], s[62:63], v[76:77] neg_lo:[1,0,0] neg_hi:[1,0,0]
	v_pk_fma_f32 v[82:83], v[16:17], s[62:63], v[76:77]
	v_mov_b32_e32 v95, v97
	v_mov_b32_e32 v81, v83
	v_pk_add_f32 v[70:71], v[80:81], v[70:71]
	v_pk_mul_f32 v[80:81], v[44:45], s[22:23]
	v_pk_mul_f32 v[40:41], v[40:41], s[70:71]
	v_pk_fma_f32 v[84:85], v[22:23], s[34:35], v[80:81] neg_lo:[1,0,0] neg_hi:[1,0,0]
	v_pk_fma_f32 v[86:87], v[22:23], s[34:35], v[80:81]
	v_pk_fma_f32 v[112:113], v[10:11], s[58:59], v[40:41] neg_lo:[1,0,0] neg_hi:[1,0,0]
	v_mov_b32_e32 v85, v87
	v_pk_add_f32 v[70:71], v[84:85], v[70:71]
	v_pk_mul_f32 v[84:85], v[46:47], s[24:25]
	v_pk_fma_f32 v[114:115], v[10:11], s[58:59], v[40:41]
	v_pk_fma_f32 v[88:89], v[28:29], s[52:53], v[84:85] neg_lo:[1,0,0] neg_hi:[1,0,0]
	v_pk_fma_f32 v[90:91], v[28:29], s[52:53], v[84:85]
	v_mov_b32_e32 v113, v115
	v_mov_b32_e32 v89, v91
	v_pk_add_f32 v[70:71], v[88:89], v[70:71]
	ds_write2_b64 v35, v[48:49], v[70:71] offset0:2 offset1:3
	v_pk_mul_f32 v[48:49], v[38:39], s[24:25]
	v_pk_mul_f32 v[38:39], v[38:39], s[26:27]
	v_pk_fma_f32 v[70:71], v[2:3], s[52:53], v[48:49] neg_lo:[1,0,0] neg_hi:[1,0,0]
	v_pk_fma_f32 v[88:89], v[2:3], s[52:53], v[48:49]
	v_pk_fma_f32 v[110:111], v[2:3], s[54:55], v[38:39]
	v_mov_b32_e32 v71, v89
	v_pk_add_f32 v[70:71], v[0:1], v[70:71]
	v_pk_fma_f32 v[36:37], v[2:3], s[60:61], v[36:37] neg_lo:[0,0,1] neg_hi:[0,0,1]
	v_pk_add_f32 v[70:71], v[94:95], v[70:71]
	v_pk_mul_f32 v[94:95], v[42:43], s[22:23]
	v_pk_mul_f32 v[42:43], v[42:43], s[24:25]
	v_pk_fma_f32 v[98:99], v[16:17], s[34:35], v[94:95] neg_lo:[1,0,0] neg_hi:[1,0,0]
	v_pk_fma_f32 v[100:101], v[16:17], s[34:35], v[94:95]
	v_pk_fma_f32 v[116:117], v[16:17], s[52:53], v[42:43]
	v_mov_b32_e32 v99, v101
	v_pk_add_f32 v[70:71], v[98:99], v[70:71]
	v_pk_mul_f32 v[98:99], v[44:45], s[26:27]
	v_pk_mul_f32 v[44:45], v[44:45], s[72:73]
	v_pk_fma_f32 v[102:103], v[22:23], s[54:55], v[98:99] neg_lo:[1,0,0] neg_hi:[1,0,0]
	v_pk_fma_f32 v[104:105], v[22:23], s[54:55], v[98:99]
	v_pk_fma_f32 v[118:119], v[22:23], s[62:63], v[44:45]
	v_mov_b32_e32 v103, v105
	v_pk_add_f32 v[70:71], v[102:103], v[70:71]
	v_pk_mul_f32 v[102:103], v[46:47], s[72:73]
	v_pk_mul_f32 v[46:47], v[46:47], s[20:21]
	v_pk_fma_f32 v[106:107], v[28:29], s[62:63], v[102:103] neg_lo:[1,0,0] neg_hi:[1,0,0]
	v_pk_fma_f32 v[108:109], v[28:29], s[62:63], v[102:103]
	v_pk_fma_f32 v[120:121], v[28:29], s[2:3], v[46:47]
	v_mov_b32_e32 v107, v109
	v_pk_add_f32 v[70:71], v[106:107], v[70:71]
	v_pk_fma_f32 v[106:107], v[2:3], s[54:55], v[38:39] neg_lo:[1,0,0] neg_hi:[1,0,0]
	v_pk_fma_f32 v[38:39], v[2:3], s[54:55], v[38:39] neg_lo:[0,0,1] neg_hi:[0,0,1]
	v_mov_b32_e32 v107, v111
	v_pk_add_f32 v[106:107], v[0:1], v[106:107]
	v_mov_b32_e32 v111, v39
	v_pk_add_f32 v[106:107], v[112:113], v[106:107]
	v_pk_fma_f32 v[112:113], v[16:17], s[52:53], v[42:43] neg_lo:[1,0,0] neg_hi:[1,0,0]
	v_pk_fma_f32 v[38:39], v[10:11], s[58:59], v[40:41] neg_lo:[0,0,1] neg_hi:[0,0,1]
	v_mov_b32_e32 v113, v117
	v_pk_add_f32 v[106:107], v[112:113], v[106:107]
	v_pk_fma_f32 v[112:113], v[22:23], s[62:63], v[44:45] neg_lo:[1,0,0] neg_hi:[1,0,0]
	v_pk_fma_f32 v[40:41], v[16:17], s[52:53], v[42:43] neg_lo:[0,0,1] neg_hi:[0,0,1]
	v_mov_b32_e32 v113, v119
	v_mov_b32_e32 v117, v41
	v_pk_fma_f32 v[40:41], v[22:23], s[62:63], v[44:45] neg_lo:[0,0,1] neg_hi:[0,0,1]
	v_pk_add_f32 v[106:107], v[112:113], v[106:107]
	v_pk_fma_f32 v[112:113], v[28:29], s[2:3], v[46:47] neg_lo:[1,0,0] neg_hi:[1,0,0]
	v_mov_b32_e32 v119, v41
	v_pk_fma_f32 v[40:41], v[28:29], s[2:3], v[46:47] neg_lo:[0,0,1] neg_hi:[0,0,1]
	v_mov_b32_e32 v113, v121
	v_mov_b32_e32 v121, v41
	v_pk_fma_f32 v[40:41], v[2:3], s[52:53], v[48:49] neg_lo:[0,0,1] neg_hi:[0,0,1]
	v_mov_b32_e32 v115, v39
	v_mov_b32_e32 v89, v41
	v_pk_fma_f32 v[40:41], v[10:11], s[64:65], v[92:93] neg_lo:[0,0,1] neg_hi:[0,0,1]
	v_pk_add_f32 v[38:39], v[0:1], v[110:111]
	v_mov_b32_e32 v97, v41
	v_pk_add_f32 v[40:41], v[0:1], v[88:89]
	v_pk_fma_f32 v[42:43], v[16:17], s[34:35], v[94:95] neg_lo:[0,0,1] neg_hi:[0,0,1]
	v_pk_add_f32 v[38:39], v[114:115], v[38:39]
	v_pk_add_f32 v[40:41], v[96:97], v[40:41]
	v_mov_b32_e32 v101, v43
	v_pk_fma_f32 v[42:43], v[22:23], s[54:55], v[98:99] neg_lo:[0,0,1] neg_hi:[0,0,1]
	v_pk_add_f32 v[38:39], v[116:117], v[38:39]
	v_pk_add_f32 v[40:41], v[100:101], v[40:41]
	v_mov_b32_e32 v105, v43
	;; [unrolled: 4-line block ×3, first 2 shown]
	v_pk_add_f32 v[38:39], v[120:121], v[38:39]
	v_pk_add_f32 v[40:41], v[108:109], v[40:41]
	ds_write2_b64 v35, v[38:39], v[40:41] offset0:6 offset1:7
	v_pk_fma_f32 v[40:41], v[16:17], s[62:63], v[76:77] neg_lo:[0,0,1] neg_hi:[0,0,1]
	v_pk_fma_f32 v[38:39], v[2:3], s[2:3], v[66:67] neg_lo:[0,0,1] neg_hi:[0,0,1]
	v_mov_b32_e32 v83, v41
	v_pk_fma_f32 v[40:41], v[22:23], s[34:35], v[80:81] neg_lo:[0,0,1] neg_hi:[0,0,1]
	v_pk_fma_f32 v[2:3], v[2:3], s[34:35], v[8:9] neg_lo:[0,0,1] neg_hi:[0,0,1]
	v_mov_b32_e32 v87, v41
	v_pk_fma_f32 v[40:41], v[28:29], s[52:53], v[84:85] neg_lo:[0,0,1] neg_hi:[0,0,1]
	v_mov_b32_e32 v73, v39
	v_pk_fma_f32 v[38:39], v[10:11], s[66:67], v[74:75] neg_lo:[0,0,1] neg_hi:[0,0,1]
	v_mov_b32_e32 v91, v41
	v_mov_b32_e32 v51, v37
	v_pk_fma_f32 v[40:41], v[10:11], s[52:53], v[52:53] neg_lo:[0,0,1] neg_hi:[0,0,1]
	v_mov_b32_e32 v7, v3
	v_pk_fma_f32 v[2:3], v[10:11], s[60:61], v[14:15] neg_lo:[0,0,1] neg_hi:[0,0,1]
	v_mov_b32_e32 v79, v39
	v_pk_add_f32 v[38:39], v[0:1], v[72:73]
	v_pk_add_f32 v[36:37], v[0:1], v[50:51]
	v_mov_b32_e32 v57, v41
	v_pk_fma_f32 v[40:41], v[16:17], s[66:67], v[54:55] neg_lo:[0,0,1] neg_hi:[0,0,1]
	v_pk_add_f32 v[0:1], v[0:1], v[6:7]
	v_mov_b32_e32 v13, v3
	v_pk_fma_f32 v[2:3], v[16:17], s[2:3], v[20:21] neg_lo:[0,0,1] neg_hi:[0,0,1]
	v_pk_add_f32 v[38:39], v[78:79], v[38:39]
	v_pk_add_f32 v[36:37], v[56:57], v[36:37]
	v_mov_b32_e32 v61, v41
	v_pk_fma_f32 v[40:41], v[22:23], s[64:65], v[58:59] neg_lo:[0,0,1] neg_hi:[0,0,1]
	v_pk_add_f32 v[0:1], v[12:13], v[0:1]
	v_mov_b32_e32 v19, v3
	v_pk_fma_f32 v[2:3], v[22:23], s[52:53], v[26:27] neg_lo:[0,0,1] neg_hi:[0,0,1]
	;; [unrolled: 7-line block ×3, first 2 shown]
	v_pk_add_f32 v[38:39], v[86:87], v[38:39]
	v_pk_add_f32 v[36:37], v[64:65], v[36:37]
	v_mov_b32_e32 v69, v41
	v_pk_add_f32 v[0:1], v[24:25], v[0:1]
	v_mov_b32_e32 v31, v3
	v_pk_add_f32 v[106:107], v[112:113], v[106:107]
	v_pk_add_f32 v[38:39], v[90:91], v[38:39]
	;; [unrolled: 1-line block ×4, first 2 shown]
	ds_write2_b64 v35, v[70:71], v[106:107] offset0:4 offset1:5
	ds_write2_b64 v35, v[38:39], v[36:37] offset0:8 offset1:9
	ds_write_b64 v35, v[0:1] offset:80
	s_waitcnt lgkmcnt(0)
	s_barrier
	ds_read2_b64 v[0:3], v35 offset1:1
	ds_read2_b64 v[6:9], v35 offset0:2 offset1:3
	s_load_dwordx8 s[20:27], s[56:57], 0x80
	s_waitcnt lgkmcnt(0)
	v_pk_mul_f32 v[12:13], v[0:1], s[10:11] op_sel_hi:[1,0]
	s_mov_b32 s10, s13
	v_pk_mul_f32 v[10:11], v[2:3], s[12:13] op_sel_hi:[1,0]
	v_pk_mul_f32 v[2:3], v[2:3], s[10:11] op_sel_hi:[1,0]
	s_mov_b32 s10, s11
	v_pk_mul_f32 v[0:1], v[0:1], s[10:11] op_sel_hi:[1,0]
	v_sub_f32_e32 v14, v10, v3
	v_sub_f32_e32 v12, v12, v1
	v_mov_b32_e32 v1, v2
	v_mov_b32_e32 v10, v13
	v_pk_add_f32 v[0:1], v[10:11], v[0:1]
	s_mov_b32 s10, s17
	v_mov_b32_e32 v13, v0
	v_mov_b32_e32 v15, v1
	v_pk_mul_f32 v[0:1], v[8:9], s[16:17] op_sel_hi:[1,0]
	v_pk_mul_f32 v[8:9], v[8:9], s[10:11] op_sel_hi:[1,0]
	s_mov_b32 s10, s15
	v_pk_mul_f32 v[2:3], v[6:7], s[14:15] op_sel_hi:[1,0]
	v_pk_mul_f32 v[6:7], v[6:7], s[10:11] op_sel_hi:[1,0]
	ds_write2_b64 v35, v[12:13], v[14:15] offset1:1
	v_sub_f32_e32 v10, v2, v7
	v_sub_f32_e32 v12, v0, v9
	v_mov_b32_e32 v7, v8
	v_mov_b32_e32 v0, v3
	v_pk_add_f32 v[6:7], v[0:1], v[6:7]
	ds_read2_b64 v[0:3], v35 offset0:4 offset1:5
	v_mov_b32_e32 v11, v6
	v_mov_b32_e32 v13, v7
	ds_read2_b64 v[6:9], v35 offset0:6 offset1:7
	s_mov_b32 s10, s19
	ds_write2_b64 v35, v[10:11], v[12:13] offset0:2 offset1:3
	s_waitcnt lgkmcnt(2)
	v_pk_mul_f32 v[10:11], v[2:3], s[20:21] op_sel_hi:[1,0]
	v_pk_mul_f32 v[12:13], v[0:1], s[18:19] op_sel_hi:[1,0]
	v_pk_mul_f32 v[2:3], v[2:3], s[20:21] op_sel:[0,1]
	v_pk_mul_f32 v[0:1], v[0:1], s[10:11] op_sel_hi:[1,0]
	v_sub_f32_e32 v14, v10, v3
	v_sub_f32_e32 v12, v12, v1
	v_mov_b32_e32 v1, v2
	v_mov_b32_e32 v10, v13
	v_pk_add_f32 v[0:1], v[10:11], v[0:1]
	s_mov_b32 s10, s23
	v_mov_b32_e32 v13, v0
	v_mov_b32_e32 v15, v1
	s_waitcnt lgkmcnt(1)
	v_pk_mul_f32 v[0:1], v[6:7], s[22:23] op_sel_hi:[1,0]
	v_pk_mul_f32 v[6:7], v[6:7], s[10:11] op_sel_hi:[1,0]
	s_mov_b32 s10, s25
	v_pk_mul_f32 v[2:3], v[8:9], s[24:25] op_sel_hi:[1,0]
	v_pk_mul_f32 v[8:9], v[8:9], s[10:11] op_sel_hi:[1,0]
	ds_write2_b64 v35, v[12:13], v[14:15] offset0:4 offset1:5
	v_sub_f32_e32 v10, v2, v9
	v_sub_f32_e32 v12, v0, v7
	v_mov_b32_e32 v7, v8
	v_mov_b32_e32 v2, v1
	s_load_dwordx4 s[12:15], s[56:57], 0xa0
	v_pk_add_f32 v[6:7], v[2:3], v[6:7]
	ds_read2_b64 v[0:3], v35 offset0:8 offset1:9
	v_mov_b32_e32 v13, v6
	v_mov_b32_e32 v11, v7
	ds_read_b64 v[6:7], v35 offset:80
	s_mov_b32 s10, s27
	ds_write2_b64 v35, v[12:13], v[10:11] offset0:6 offset1:7
	s_waitcnt lgkmcnt(0)
	v_pk_mul_f32 v[8:9], v[0:1], s[26:27] op_sel_hi:[1,0]
	v_pk_mul_f32 v[10:11], v[2:3], s[12:13] op_sel_hi:[1,0]
	;; [unrolled: 1-line block ×3, first 2 shown]
	v_pk_mul_f32 v[2:3], v[2:3], s[12:13] op_sel:[0,1]
	v_sub_f32_e32 v8, v8, v1
	v_sub_f32_e32 v12, v10, v3
	v_mov_b32_e32 v1, v2
	v_mov_b32_e32 v10, v9
	v_pk_add_f32 v[0:1], v[10:11], v[0:1]
	s_mov_b32 s10, s61
	v_mov_b32_e32 v9, v0
	v_mov_b32_e32 v13, v1
	v_mul_f32_e32 v0, s15, v7
	v_mul_f32_e32 v1, s15, v6
	v_fma_f32 v0, v6, s14, -v0
	v_fmac_f32_e32 v1, s14, v7
	ds_write2_b64 v35, v[8:9], v[12:13] offset0:8 offset1:9
	ds_write_b64 v35, v[0:1] offset:80
	s_waitcnt lgkmcnt(0)
	s_barrier
	ds_read2_b64 v[0:3], v35 offset1:1
	ds_read2_b64 v[10:13], v35 offset0:2 offset1:3
	ds_read2_b64 v[18:21], v35 offset0:4 offset1:5
	ds_read2_b64 v[22:25], v35 offset0:6 offset1:7
	ds_read2_b64 v[14:17], v35 offset0:8 offset1:9
	ds_read_b64 v[6:7], v35 offset:80
	s_waitcnt lgkmcnt(5)
	v_pk_add_f32 v[8:9], v[0:1], v[2:3]
	s_mov_b32 s14, s35
	s_waitcnt lgkmcnt(4)
	v_pk_add_f32 v[8:9], v[8:9], v[10:11]
	s_waitcnt lgkmcnt(1)
	v_pk_add_f32 v[38:39], v[10:11], v[16:17] neg_lo:[0,1] neg_hi:[0,1]
	v_pk_add_f32 v[8:9], v[8:9], v[12:13]
	s_waitcnt lgkmcnt(0)
	v_pk_add_f32 v[30:31], v[2:3], v[6:7] neg_lo:[0,1] neg_hi:[0,1]
	v_pk_add_f32 v[8:9], v[8:9], v[18:19]
	v_pk_add_f32 v[28:29], v[6:7], v[2:3]
	;; [unrolled: 1-line block ×5, first 2 shown]
	v_pk_mul_f32 v[10:11], v[38:39], s[60:61] op_sel_hi:[1,0]
	v_pk_add_f32 v[8:9], v[8:9], v[24:25]
	v_pk_add_f32 v[40:41], v[12:13], v[14:15] neg_lo:[0,1] neg_hi:[0,1]
	v_pk_add_f32 v[8:9], v[8:9], v[14:15]
	s_mov_b32 s12, s3
	v_pk_add_f32 v[8:9], v[8:9], v[16:17]
	v_pk_add_f32 v[44:45], v[24:25], v[18:19]
	;; [unrolled: 1-line block ×3, first 2 shown]
	v_pk_mul_f32 v[6:7], v[30:31], s[34:35] op_sel_hi:[1,0]
	v_pk_add_f32 v[24:25], v[18:19], v[24:25] neg_lo:[0,1] neg_hi:[0,1]
	v_pk_fma_f32 v[2:3], v[28:29], s[14:15], v[6:7] op_sel:[0,0,1] op_sel_hi:[1,0,0]
	v_pk_fma_f32 v[6:7], v[28:29], s[14:15], v[6:7] op_sel:[0,0,1] op_sel_hi:[1,0,0] neg_lo:[0,0,1] neg_hi:[0,0,1]
	v_mov_b32_e32 v8, v2
	v_mov_b32_e32 v9, v7
	v_pk_add_f32 v[32:33], v[0:1], v[8:9]
	v_pk_fma_f32 v[8:9], v[36:37], s[10:11], v[10:11] op_sel:[0,0,1] op_sel_hi:[1,0,0]
	v_pk_fma_f32 v[10:11], v[36:37], s[10:11], v[10:11] op_sel:[0,0,1] op_sel_hi:[1,0,0] neg_lo:[0,0,1] neg_hi:[0,0,1]
	v_mov_b32_e32 v16, v8
	v_mov_b32_e32 v17, v11
	v_pk_add_f32 v[16:17], v[16:17], v[32:33]
	v_pk_add_f32 v[32:33], v[14:15], v[12:13]
	v_pk_mul_f32 v[14:15], v[40:41], s[2:3] op_sel_hi:[1,0]
	s_mov_b32 s16, s53
	v_pk_fma_f32 v[12:13], v[32:33], s[12:13], v[14:15] op_sel:[0,0,1] op_sel_hi:[1,0,0]
	v_pk_fma_f32 v[14:15], v[32:33], s[12:13], v[14:15] op_sel:[0,0,1] op_sel_hi:[1,0,0] neg_lo:[0,0,1] neg_hi:[0,0,1]
	v_mov_b32_e32 v42, v12
	v_mov_b32_e32 v43, v15
	v_pk_mul_f32 v[18:19], v[24:25], s[52:53] op_sel_hi:[1,0]
	v_pk_add_f32 v[42:43], v[42:43], v[16:17]
	v_pk_fma_f32 v[16:17], v[44:45], s[16:17], v[18:19] op_sel:[0,0,1] op_sel_hi:[1,0,0]
	v_pk_fma_f32 v[18:19], v[44:45], s[16:17], v[18:19] op_sel:[0,0,1] op_sel_hi:[1,0,0] neg_lo:[0,0,1] neg_hi:[0,0,1]
	v_mov_b32_e32 v46, v16
	v_mov_b32_e32 v47, v19
	v_pk_add_f32 v[48:49], v[20:21], v[22:23] neg_lo:[0,1] neg_hi:[0,1]
	v_pk_add_f32 v[42:43], v[46:47], v[42:43]
	v_pk_add_f32 v[46:47], v[22:23], v[20:21]
	s_mov_b32 s18, s55
	v_pk_mul_f32 v[22:23], v[48:49], s[54:55] op_sel_hi:[1,0]
	v_pk_mul_f32 v[52:53], v[38:39], s[52:53] op_sel_hi:[1,0]
	v_pk_fma_f32 v[20:21], v[46:47], s[18:19], v[22:23] op_sel:[0,0,1] op_sel_hi:[1,0,0]
	v_pk_fma_f32 v[22:23], v[46:47], s[18:19], v[22:23] op_sel:[0,0,1] op_sel_hi:[1,0,0] neg_lo:[0,0,1] neg_hi:[0,0,1]
	v_mov_b32_e32 v50, v20
	v_mov_b32_e32 v51, v23
	v_pk_add_f32 v[42:43], v[50:51], v[42:43]
	ds_write2_b64 v35, v[26:27], v[42:43] offset1:1
	v_pk_mul_f32 v[26:27], v[30:31], s[60:61] op_sel_hi:[1,0]
	v_pk_fma_f32 v[54:55], v[36:37], s[16:17], v[52:53] op_sel:[0,0,1] op_sel_hi:[1,0,0]
	v_pk_fma_f32 v[42:43], v[28:29], s[10:11], v[26:27] op_sel:[0,0,1] op_sel_hi:[1,0,0]
	v_pk_fma_f32 v[26:27], v[28:29], s[10:11], v[26:27] op_sel:[0,0,1] op_sel_hi:[1,0,0] neg_lo:[0,0,1] neg_hi:[0,0,1]
	v_mov_b32_e32 v50, v42
	v_mov_b32_e32 v51, v27
	v_pk_fma_f32 v[52:53], v[36:37], s[16:17], v[52:53] op_sel:[0,0,1] op_sel_hi:[1,0,0] neg_lo:[0,0,1] neg_hi:[0,0,1]
	v_pk_add_f32 v[50:51], v[0:1], v[50:51]
	v_mov_b32_e32 v56, v54
	v_mov_b32_e32 v57, v53
	v_pk_add_f32 v[50:51], v[56:57], v[50:51]
	v_pk_mul_f32 v[56:57], v[40:41], s[66:67] op_sel_hi:[1,0]
	v_pk_mul_f32 v[74:75], v[38:39], s[66:67] op_sel_hi:[1,0]
	v_pk_fma_f32 v[58:59], v[32:33], s[18:19], v[56:57] op_sel:[0,0,1] op_sel_hi:[1,0,0]
	v_pk_fma_f32 v[56:57], v[32:33], s[18:19], v[56:57] op_sel:[0,0,1] op_sel_hi:[1,0,0] neg_lo:[0,0,1] neg_hi:[0,0,1]
	v_mov_b32_e32 v60, v58
	v_mov_b32_e32 v61, v57
	v_pk_add_f32 v[50:51], v[60:61], v[50:51]
	v_pk_mul_f32 v[60:61], v[24:25], s[64:65] op_sel_hi:[1,0]
	v_pk_fma_f32 v[76:77], v[36:37], s[18:19], v[74:75] op_sel:[0,0,1] op_sel_hi:[1,0,0]
	v_pk_fma_f32 v[62:63], v[44:45], s[12:13], v[60:61] op_sel:[0,0,1] op_sel_hi:[1,0,0]
	v_pk_fma_f32 v[60:61], v[44:45], s[12:13], v[60:61] op_sel:[0,0,1] op_sel_hi:[1,0,0] neg_lo:[0,0,1] neg_hi:[0,0,1]
	v_mov_b32_e32 v64, v62
	v_mov_b32_e32 v65, v61
	v_pk_add_f32 v[50:51], v[64:65], v[50:51]
	v_pk_mul_f32 v[64:65], v[48:49], s[58:59] op_sel_hi:[1,0]
	v_pk_fma_f32 v[74:75], v[36:37], s[18:19], v[74:75] op_sel:[0,0,1] op_sel_hi:[1,0,0] neg_lo:[0,0,1] neg_hi:[0,0,1]
	v_pk_fma_f32 v[66:67], v[46:47], s[14:15], v[64:65] op_sel:[0,0,1] op_sel_hi:[1,0,0]
	v_pk_fma_f32 v[64:65], v[46:47], s[14:15], v[64:65] op_sel:[0,0,1] op_sel_hi:[1,0,0] neg_lo:[0,0,1] neg_hi:[0,0,1]
	v_mov_b32_e32 v68, v66
	v_mov_b32_e32 v69, v65
	v_pk_add_f32 v[50:51], v[68:69], v[50:51]
	v_pk_mul_f32 v[68:69], v[30:31], s[2:3] op_sel_hi:[1,0]
	v_mov_b32_e32 v78, v76
	v_pk_fma_f32 v[70:71], v[28:29], s[12:13], v[68:69] op_sel:[0,0,1] op_sel_hi:[1,0,0]
	v_pk_fma_f32 v[68:69], v[28:29], s[12:13], v[68:69] op_sel:[0,0,1] op_sel_hi:[1,0,0] neg_lo:[0,0,1] neg_hi:[0,0,1]
	v_mov_b32_e32 v72, v70
	v_mov_b32_e32 v73, v69
	v_pk_add_f32 v[72:73], v[0:1], v[72:73]
	v_mov_b32_e32 v79, v75
	v_pk_add_f32 v[72:73], v[78:79], v[72:73]
	v_pk_mul_f32 v[78:79], v[40:41], s[62:63] op_sel_hi:[1,0]
	v_pk_mul_f32 v[92:93], v[38:39], s[64:65] op_sel_hi:[1,0]
	v_pk_fma_f32 v[80:81], v[32:33], s[10:11], v[78:79] op_sel:[0,0,1] op_sel_hi:[1,0,0]
	v_pk_fma_f32 v[78:79], v[32:33], s[10:11], v[78:79] op_sel:[0,0,1] op_sel_hi:[1,0,0] neg_lo:[0,0,1] neg_hi:[0,0,1]
	v_mov_b32_e32 v82, v80
	v_mov_b32_e32 v83, v79
	v_pk_add_f32 v[72:73], v[82:83], v[72:73]
	v_pk_mul_f32 v[82:83], v[24:25], s[34:35] op_sel_hi:[1,0]
	v_pk_fma_f32 v[94:95], v[36:37], s[12:13], v[92:93] op_sel:[0,0,1] op_sel_hi:[1,0,0]
	v_pk_fma_f32 v[84:85], v[44:45], s[14:15], v[82:83] op_sel:[0,0,1] op_sel_hi:[1,0,0]
	v_pk_fma_f32 v[82:83], v[44:45], s[14:15], v[82:83] op_sel:[0,0,1] op_sel_hi:[1,0,0] neg_lo:[0,0,1] neg_hi:[0,0,1]
	v_mov_b32_e32 v86, v84
	v_mov_b32_e32 v87, v83
	v_pk_add_f32 v[72:73], v[86:87], v[72:73]
	v_pk_mul_f32 v[86:87], v[48:49], s[52:53] op_sel_hi:[1,0]
	v_pk_fma_f32 v[92:93], v[36:37], s[12:13], v[92:93] op_sel:[0,0,1] op_sel_hi:[1,0,0] neg_lo:[0,0,1] neg_hi:[0,0,1]
	v_pk_fma_f32 v[88:89], v[46:47], s[16:17], v[86:87] op_sel:[0,0,1] op_sel_hi:[1,0,0]
	v_pk_fma_f32 v[86:87], v[46:47], s[16:17], v[86:87] op_sel:[0,0,1] op_sel_hi:[1,0,0] neg_lo:[0,0,1] neg_hi:[0,0,1]
	v_mov_b32_e32 v90, v88
	v_mov_b32_e32 v91, v87
	v_pk_add_f32 v[72:73], v[90:91], v[72:73]
	ds_write2_b64 v35, v[50:51], v[72:73] offset0:2 offset1:3
	v_pk_mul_f32 v[50:51], v[30:31], s[52:53] op_sel_hi:[1,0]
	v_mov_b32_e32 v96, v94
	v_pk_fma_f32 v[72:73], v[28:29], s[16:17], v[50:51] op_sel:[0,0,1] op_sel_hi:[1,0,0]
	v_pk_fma_f32 v[50:51], v[28:29], s[16:17], v[50:51] op_sel:[0,0,1] op_sel_hi:[1,0,0] neg_lo:[0,0,1] neg_hi:[0,0,1]
	v_mov_b32_e32 v90, v72
	v_mov_b32_e32 v91, v51
	v_pk_add_f32 v[90:91], v[0:1], v[90:91]
	v_mov_b32_e32 v97, v93
	v_pk_add_f32 v[90:91], v[96:97], v[90:91]
	v_pk_mul_f32 v[96:97], v[40:41], s[34:35] op_sel_hi:[1,0]
	v_pk_mul_f32 v[30:31], v[30:31], s[54:55] op_sel_hi:[1,0]
	v_pk_fma_f32 v[98:99], v[32:33], s[14:15], v[96:97] op_sel:[0,0,1] op_sel_hi:[1,0,0]
	v_pk_fma_f32 v[96:97], v[32:33], s[14:15], v[96:97] op_sel:[0,0,1] op_sel_hi:[1,0,0] neg_lo:[0,0,1] neg_hi:[0,0,1]
	v_mov_b32_e32 v100, v98
	v_mov_b32_e32 v101, v97
	v_pk_add_f32 v[90:91], v[100:101], v[90:91]
	v_pk_mul_f32 v[100:101], v[24:25], s[54:55] op_sel_hi:[1,0]
	v_pk_mul_f32 v[40:41], v[40:41], s[52:53] op_sel_hi:[1,0]
	v_pk_fma_f32 v[102:103], v[44:45], s[18:19], v[100:101] op_sel:[0,0,1] op_sel_hi:[1,0,0]
	v_pk_fma_f32 v[100:101], v[44:45], s[18:19], v[100:101] op_sel:[0,0,1] op_sel_hi:[1,0,0] neg_lo:[0,0,1] neg_hi:[0,0,1]
	v_mov_b32_e32 v104, v102
	;; [unrolled: 7-line block ×3, first 2 shown]
	v_mov_b32_e32 v109, v105
	v_pk_add_f32 v[90:91], v[108:109], v[90:91]
	v_pk_fma_f32 v[108:109], v[28:29], s[18:19], v[30:31] op_sel:[0,0,1] op_sel_hi:[1,0,0]
	v_pk_fma_f32 v[28:29], v[28:29], s[18:19], v[30:31] op_sel:[0,0,1] op_sel_hi:[1,0,0] neg_lo:[0,0,1] neg_hi:[0,0,1]
	v_pk_mul_f32 v[30:31], v[38:39], s[58:59] op_sel_hi:[1,0]
	v_mov_b32_e32 v51, v73
	v_pk_fma_f32 v[38:39], v[36:37], s[14:15], v[30:31] op_sel:[0,0,1] op_sel_hi:[1,0,0]
	v_pk_fma_f32 v[30:31], v[36:37], s[14:15], v[30:31] op_sel:[0,0,1] op_sel_hi:[1,0,0] neg_lo:[0,0,1] neg_hi:[0,0,1]
	v_mov_b32_e32 v36, v108
	v_mov_b32_e32 v37, v29
	v_pk_add_f32 v[36:37], v[0:1], v[36:37]
	v_mov_b32_e32 v110, v38
	v_mov_b32_e32 v111, v31
	v_pk_add_f32 v[36:37], v[110:111], v[36:37]
	v_pk_fma_f32 v[110:111], v[32:33], s[16:17], v[40:41] op_sel:[0,0,1] op_sel_hi:[1,0,0]
	v_pk_fma_f32 v[32:33], v[32:33], s[16:17], v[40:41] op_sel:[0,0,1] op_sel_hi:[1,0,0] neg_lo:[0,0,1] neg_hi:[0,0,1]
	v_mov_b32_e32 v29, v109
	v_mov_b32_e32 v40, v110
	;; [unrolled: 1-line block ×4, first 2 shown]
	v_pk_add_f32 v[28:29], v[0:1], v[28:29]
	v_pk_add_f32 v[36:37], v[40:41], v[36:37]
	v_pk_fma_f32 v[40:41], v[44:45], s[10:11], v[24:25] op_sel:[0,0,1] op_sel_hi:[1,0,0]
	v_pk_fma_f32 v[24:25], v[44:45], s[10:11], v[24:25] op_sel:[0,0,1] op_sel_hi:[1,0,0] neg_lo:[0,0,1] neg_hi:[0,0,1]
	v_pk_add_f32 v[28:29], v[30:31], v[28:29]
	v_mov_b32_e32 v33, v111
	v_mov_b32_e32 v45, v25
	v_pk_add_f32 v[28:29], v[32:33], v[28:29]
	v_mov_b32_e32 v25, v41
	v_mov_b32_e32 v44, v40
	v_pk_add_f32 v[24:25], v[24:25], v[28:29]
	v_mov_b32_e32 v93, v95
	v_pk_add_f32 v[28:29], v[0:1], v[50:51]
	v_pk_add_f32 v[36:37], v[44:45], v[36:37]
	v_pk_mul_f32 v[44:45], v[48:49], s[2:3] op_sel_hi:[1,0]
	v_pk_add_f32 v[28:29], v[92:93], v[28:29]
	v_mov_b32_e32 v97, v99
	v_pk_fma_f32 v[48:49], v[46:47], s[12:13], v[44:45] op_sel:[0,0,1] op_sel_hi:[1,0,0]
	v_pk_fma_f32 v[44:45], v[46:47], s[12:13], v[44:45] op_sel:[0,0,1] op_sel_hi:[1,0,0] neg_lo:[0,0,1] neg_hi:[0,0,1]
	v_pk_add_f32 v[28:29], v[96:97], v[28:29]
	v_mov_b32_e32 v101, v103
	v_mov_b32_e32 v47, v45
	;; [unrolled: 1-line block ×3, first 2 shown]
	v_pk_add_f32 v[28:29], v[100:101], v[28:29]
	v_mov_b32_e32 v105, v107
	v_pk_add_f32 v[24:25], v[44:45], v[24:25]
	v_pk_add_f32 v[28:29], v[104:105], v[28:29]
	v_mov_b32_e32 v69, v71
	v_mov_b32_e32 v27, v43
	;; [unrolled: 1-line block ×3, first 2 shown]
	ds_write2_b64 v35, v[24:25], v[28:29] offset0:6 offset1:7
	v_mov_b32_e32 v75, v77
	v_pk_add_f32 v[28:29], v[0:1], v[68:69]
	v_pk_add_f32 v[26:27], v[0:1], v[26:27]
	v_mov_b32_e32 v53, v55
	v_pk_add_f32 v[0:1], v[0:1], v[6:7]
	v_mov_b32_e32 v11, v9
	;; [unrolled: 2-line block ×8, first 2 shown]
	v_mov_b32_e32 v46, v48
	v_pk_add_f32 v[28:29], v[82:83], v[28:29]
	v_mov_b32_e32 v87, v89
	v_pk_add_f32 v[26:27], v[60:61], v[26:27]
	;; [unrolled: 2-line block ×4, first 2 shown]
	v_pk_add_f32 v[28:29], v[86:87], v[28:29]
	v_pk_add_f32 v[26:27], v[64:65], v[26:27]
	;; [unrolled: 1-line block ×3, first 2 shown]
	ds_write2_b64 v35, v[90:91], v[36:37] offset0:4 offset1:5
	ds_write2_b64 v35, v[28:29], v[26:27] offset0:8 offset1:9
	ds_write_b64 v35, v[0:1] offset:80
	s_waitcnt lgkmcnt(0)
	s_barrier
	ds_read2_b64 v[0:3], v35 offset1:1
	v_mov_b32_e32 v24, s0
	v_mov_b32_e32 v25, s1
	v_mad_u64_u32 v[30:31], s[0:1], s30, v4, 0
	v_mov_b32_e32 v8, v31
	v_mad_u64_u32 v[6:7], s[0:1], s31, v4, v[8:9]
	v_mov_b32_e32 v31, v6
	ds_read2_b64 v[6:9], v35 offset0:2 offset1:3
	s_waitcnt lgkmcnt(1)
	v_mul_f32_e32 v4, s37, v1
	v_fmac_f32_e32 v4, s36, v0
	v_mul_f32_e32 v0, s37, v0
	s_mov_b32 s0, 0x745d1746
	v_fma_f32 v0, s36, v1, -v0
	v_cvt_f64_f32_e32 v[10:11], v4
	s_mov_b32 s1, 0x3fb745d1
	v_cvt_f64_f32_e32 v[0:1], v0
	v_mul_f64 v[10:11], v[10:11], s[0:1]
	v_mul_f64 v[0:1], v[0:1], s[0:1]
	v_cvt_f32_f64_e32 v10, v[10:11]
	v_cvt_f32_f64_e32 v11, v[0:1]
	v_mul_f32_e32 v0, s39, v3
	v_fmac_f32_e32 v0, s38, v2
	v_cvt_f64_f32_e32 v[0:1], v0
	v_mul_f64 v[0:1], v[0:1], s[0:1]
	v_cvt_f32_f64_e32 v0, v[0:1]
	v_mul_f32_e32 v1, s39, v2
	v_fma_f32 v1, s38, v3, -v1
	v_cvt_f64_f32_e32 v[2:3], v1
	v_lshl_add_u64 v[12:13], v[30:31], 3, v[24:25]
	v_mul_f64 v[2:3], v[2:3], s[0:1]
	v_cvt_f32_f64_e32 v1, v[2:3]
	v_lshl_add_u64 v[2:3], s[28:29], 3, v[12:13]
	global_store_dwordx2 v[12:13], v[10:11], off
	global_store_dwordx2 v[2:3], v[0:1], off
	s_waitcnt lgkmcnt(0)
	v_mul_f32_e32 v0, s41, v7
	v_fmac_f32_e32 v0, s40, v6
	v_cvt_f64_f32_e32 v[0:1], v0
	v_mul_f64 v[0:1], v[0:1], s[0:1]
	v_cvt_f32_f64_e32 v0, v[0:1]
	v_mul_f32_e32 v1, s41, v6
	v_fma_f32 v1, s40, v7, -v1
	v_cvt_f64_f32_e32 v[2:3], v1
	v_mul_f64 v[2:3], v[2:3], s[0:1]
	v_cvt_f32_f64_e32 v1, v[2:3]
	v_lshl_add_u64 v[2:3], s[28:29], 4, v[12:13]
	global_store_dwordx2 v[2:3], v[0:1], off
	v_mul_f32_e32 v0, s43, v9
	v_fmac_f32_e32 v0, s42, v8
	v_cvt_f64_f32_e32 v[0:1], v0
	v_mul_f64 v[0:1], v[0:1], s[0:1]
	v_cvt_f32_f64_e32 v6, v[0:1]
	v_mul_f32_e32 v0, s43, v8
	v_fma_f32 v0, s42, v9, -v0
	v_cvt_f64_f32_e32 v[0:1], v0
	v_mul_f64 v[0:1], v[0:1], s[0:1]
	v_cvt_f32_f64_e32 v7, v[0:1]
	ds_read2_b64 v[0:3], v35 offset0:4 offset1:5
	v_mad_u64_u32 v[8:9], s[2:3], s28, 24, v[12:13]
	v_mov_b32_e32 v4, v9
	v_mad_u64_u32 v[10:11], s[2:3], s29, 24, v[4:5]
	v_mov_b32_e32 v9, v10
	global_store_dwordx2 v[8:9], v[6:7], off
	ds_read2_b64 v[6:9], v35 offset0:6 offset1:7
	s_waitcnt lgkmcnt(1)
	v_mul_f32_e32 v4, s45, v1
	v_fmac_f32_e32 v4, s44, v0
	v_mul_f32_e32 v0, s45, v0
	v_fma_f32 v0, s44, v1, -v0
	v_cvt_f64_f32_e32 v[10:11], v4
	v_cvt_f64_f32_e32 v[0:1], v0
	v_mul_f64 v[10:11], v[10:11], s[0:1]
	v_mul_f64 v[0:1], v[0:1], s[0:1]
	s_lshl_b64 s[2:3], s[28:29], 5
	v_cvt_f32_f64_e32 v10, v[10:11]
	v_cvt_f32_f64_e32 v11, v[0:1]
	v_lshl_add_u64 v[0:1], v[12:13], 0, s[2:3]
	global_store_dwordx2 v[0:1], v[10:11], off
	v_mul_f32_e32 v0, s47, v3
	v_fmac_f32_e32 v0, s46, v2
	v_cvt_f64_f32_e32 v[0:1], v0
	v_mul_f64 v[0:1], v[0:1], s[0:1]
	v_cvt_f32_f64_e32 v0, v[0:1]
	v_mul_f32_e32 v1, s47, v2
	v_fma_f32 v1, s46, v3, -v1
	v_cvt_f64_f32_e32 v[2:3], v1
	v_mul_f64 v[2:3], v[2:3], s[0:1]
	v_cvt_f32_f64_e32 v1, v[2:3]
	v_mad_u64_u32 v[2:3], s[2:3], s28, 40, v[12:13]
	v_mov_b32_e32 v4, v3
	v_mad_u64_u32 v[10:11], s[2:3], s29, 40, v[4:5]
	v_mov_b32_e32 v3, v10
	global_store_dwordx2 v[2:3], v[0:1], off
	s_waitcnt lgkmcnt(0)
	v_mul_f32_e32 v0, s49, v7
	v_fmac_f32_e32 v0, s48, v6
	v_cvt_f64_f32_e32 v[0:1], v0
	v_mul_f64 v[0:1], v[0:1], s[0:1]
	v_cvt_f32_f64_e32 v0, v[0:1]
	v_mul_f32_e32 v1, s49, v6
	v_fma_f32 v1, s48, v7, -v1
	v_cvt_f64_f32_e32 v[2:3], v1
	v_mul_f64 v[2:3], v[2:3], s[0:1]
	v_cvt_f32_f64_e32 v1, v[2:3]
	v_mad_u64_u32 v[2:3], s[2:3], s28, 48, v[12:13]
	v_mov_b32_e32 v4, v3
	v_mad_u64_u32 v[6:7], s[2:3], s29, 48, v[4:5]
	v_mov_b32_e32 v3, v6
	global_store_dwordx2 v[2:3], v[0:1], off
	v_mul_f32_e32 v0, s51, v9
	v_fmac_f32_e32 v0, s50, v8
	v_cvt_f64_f32_e32 v[0:1], v0
	v_mul_f64 v[0:1], v[0:1], s[0:1]
	v_cvt_f32_f64_e32 v6, v[0:1]
	v_mul_f32_e32 v0, s51, v8
	v_fma_f32 v0, s50, v9, -v0
	v_cvt_f64_f32_e32 v[0:1], v0
	v_mul_f64 v[0:1], v[0:1], s[0:1]
	v_cvt_f32_f64_e32 v7, v[0:1]
	ds_read2_b64 v[0:3], v35 offset0:8 offset1:9
	v_mad_u64_u32 v[8:9], s[2:3], s28, 56, v[12:13]
	v_mov_b32_e32 v4, v9
	v_mad_u64_u32 v[10:11], s[2:3], s29, 56, v[4:5]
	v_mov_b32_e32 v9, v10
	global_store_dwordx2 v[8:9], v[6:7], off
	ds_read_b64 v[6:7], v35 offset:80
	s_waitcnt lgkmcnt(1)
	v_mul_f32_e32 v4, s5, v1
	v_fmac_f32_e32 v4, s4, v0
	v_mul_f32_e32 v0, s5, v0
	v_fma_f32 v0, s4, v1, -v0
	v_cvt_f64_f32_e32 v[8:9], v4
	v_cvt_f64_f32_e32 v[0:1], v0
	v_mul_f64 v[8:9], v[8:9], s[0:1]
	v_mul_f64 v[0:1], v[0:1], s[0:1]
	s_lshl_b64 s[2:3], s[28:29], 6
	v_cvt_f32_f64_e32 v8, v[8:9]
	v_cvt_f32_f64_e32 v9, v[0:1]
	v_lshl_add_u64 v[0:1], v[12:13], 0, s[2:3]
	global_store_dwordx2 v[0:1], v[8:9], off
	v_mul_f32_e32 v0, s7, v3
	v_fmac_f32_e32 v0, s6, v2
	v_cvt_f64_f32_e32 v[0:1], v0
	v_mul_f64 v[0:1], v[0:1], s[0:1]
	v_cvt_f32_f64_e32 v0, v[0:1]
	v_mul_f32_e32 v1, s7, v2
	v_fma_f32 v1, s6, v3, -v1
	v_cvt_f64_f32_e32 v[2:3], v1
	v_mul_f64 v[2:3], v[2:3], s[0:1]
	v_cvt_f32_f64_e32 v1, v[2:3]
	v_mad_u64_u32 v[2:3], s[2:3], s28, v5, v[12:13]
	s_mul_i32 s2, s29, 0x48
	s_nop 0
	v_add_u32_e32 v3, s2, v3
	global_store_dwordx2 v[2:3], v[0:1], off
	s_waitcnt lgkmcnt(0)
	v_mul_f32_e32 v0, s9, v7
	v_fmac_f32_e32 v0, s8, v6
	v_cvt_f64_f32_e32 v[0:1], v0
	v_mul_f64 v[0:1], v[0:1], s[0:1]
	v_cvt_f32_f64_e32 v0, v[0:1]
	v_mul_f32_e32 v1, s9, v6
	v_fma_f32 v1, s8, v7, -v1
	v_cvt_f64_f32_e32 v[2:3], v1
	v_mul_f64 v[2:3], v[2:3], s[0:1]
	v_cvt_f32_f64_e32 v1, v[2:3]
	v_mad_u64_u32 v[2:3], s[0:1], s28, v34, v[12:13]
	s_mul_i32 s0, s29, 0x50
	s_nop 0
	v_add_u32_e32 v3, s0, v3
	global_store_dwordx2 v[2:3], v[0:1], off
.LBB0_2:
	s_endpgm
	.section	.rodata,"a",@progbits
	.p2align	6, 0x0
	.amdhsa_kernel bluestein_single_back_len11_dim1_sp_op_CI_CI
		.amdhsa_group_segment_fixed_size 11264
		.amdhsa_private_segment_fixed_size 0
		.amdhsa_kernarg_size 104
		.amdhsa_user_sgpr_count 2
		.amdhsa_user_sgpr_dispatch_ptr 0
		.amdhsa_user_sgpr_queue_ptr 0
		.amdhsa_user_sgpr_kernarg_segment_ptr 1
		.amdhsa_user_sgpr_dispatch_id 0
		.amdhsa_user_sgpr_kernarg_preload_length 0
		.amdhsa_user_sgpr_kernarg_preload_offset 0
		.amdhsa_user_sgpr_private_segment_size 0
		.amdhsa_uses_dynamic_stack 0
		.amdhsa_enable_private_segment 0
		.amdhsa_system_sgpr_workgroup_id_x 1
		.amdhsa_system_sgpr_workgroup_id_y 0
		.amdhsa_system_sgpr_workgroup_id_z 0
		.amdhsa_system_sgpr_workgroup_info 0
		.amdhsa_system_vgpr_workitem_id 0
		.amdhsa_next_free_vgpr 122
		.amdhsa_next_free_sgpr 74
		.amdhsa_accum_offset 124
		.amdhsa_reserve_vcc 1
		.amdhsa_float_round_mode_32 0
		.amdhsa_float_round_mode_16_64 0
		.amdhsa_float_denorm_mode_32 3
		.amdhsa_float_denorm_mode_16_64 3
		.amdhsa_dx10_clamp 1
		.amdhsa_ieee_mode 1
		.amdhsa_fp16_overflow 0
		.amdhsa_tg_split 0
		.amdhsa_exception_fp_ieee_invalid_op 0
		.amdhsa_exception_fp_denorm_src 0
		.amdhsa_exception_fp_ieee_div_zero 0
		.amdhsa_exception_fp_ieee_overflow 0
		.amdhsa_exception_fp_ieee_underflow 0
		.amdhsa_exception_fp_ieee_inexact 0
		.amdhsa_exception_int_div_zero 0
	.end_amdhsa_kernel
	.text
.Lfunc_end0:
	.size	bluestein_single_back_len11_dim1_sp_op_CI_CI, .Lfunc_end0-bluestein_single_back_len11_dim1_sp_op_CI_CI
                                        ; -- End function
	.section	.AMDGPU.csdata,"",@progbits
; Kernel info:
; codeLenInByte = 5960
; NumSgprs: 80
; NumVgprs: 122
; NumAgprs: 0
; TotalNumVgprs: 122
; ScratchSize: 0
; MemoryBound: 0
; FloatMode: 240
; IeeeMode: 1
; LDSByteSize: 11264 bytes/workgroup (compile time only)
; SGPRBlocks: 9
; VGPRBlocks: 15
; NumSGPRsForWavesPerEU: 80
; NumVGPRsForWavesPerEU: 122
; AccumOffset: 124
; Occupancy: 4
; WaveLimiterHint : 1
; COMPUTE_PGM_RSRC2:SCRATCH_EN: 0
; COMPUTE_PGM_RSRC2:USER_SGPR: 2
; COMPUTE_PGM_RSRC2:TRAP_HANDLER: 0
; COMPUTE_PGM_RSRC2:TGID_X_EN: 1
; COMPUTE_PGM_RSRC2:TGID_Y_EN: 0
; COMPUTE_PGM_RSRC2:TGID_Z_EN: 0
; COMPUTE_PGM_RSRC2:TIDIG_COMP_CNT: 0
; COMPUTE_PGM_RSRC3_GFX90A:ACCUM_OFFSET: 30
; COMPUTE_PGM_RSRC3_GFX90A:TG_SPLIT: 0
	.text
	.p2alignl 6, 3212836864
	.fill 256, 4, 3212836864
	.type	__hip_cuid_7d325d9557064857,@object ; @__hip_cuid_7d325d9557064857
	.section	.bss,"aw",@nobits
	.globl	__hip_cuid_7d325d9557064857
__hip_cuid_7d325d9557064857:
	.byte	0                               ; 0x0
	.size	__hip_cuid_7d325d9557064857, 1

	.ident	"AMD clang version 19.0.0git (https://github.com/RadeonOpenCompute/llvm-project roc-6.4.0 25133 c7fe45cf4b819c5991fe208aaa96edf142730f1d)"
	.section	".note.GNU-stack","",@progbits
	.addrsig
	.addrsig_sym __hip_cuid_7d325d9557064857
	.amdgpu_metadata
---
amdhsa.kernels:
  - .agpr_count:     0
    .args:
      - .actual_access:  read_only
        .address_space:  global
        .offset:         0
        .size:           8
        .value_kind:     global_buffer
      - .actual_access:  read_only
        .address_space:  global
        .offset:         8
        .size:           8
        .value_kind:     global_buffer
      - .actual_access:  read_only
        .address_space:  global
        .offset:         16
        .size:           8
        .value_kind:     global_buffer
      - .actual_access:  read_only
        .address_space:  global
        .offset:         24
        .size:           8
        .value_kind:     global_buffer
      - .actual_access:  read_only
        .address_space:  global
        .offset:         32
        .size:           8
        .value_kind:     global_buffer
      - .offset:         40
        .size:           8
        .value_kind:     by_value
      - .address_space:  global
        .offset:         48
        .size:           8
        .value_kind:     global_buffer
      - .address_space:  global
        .offset:         56
        .size:           8
        .value_kind:     global_buffer
      - .address_space:  global
        .offset:         64
        .size:           8
        .value_kind:     global_buffer
      - .address_space:  global
        .offset:         72
        .size:           8
        .value_kind:     global_buffer
      - .offset:         80
        .size:           4
        .value_kind:     by_value
      - .address_space:  global
        .offset:         88
        .size:           8
        .value_kind:     global_buffer
      - .address_space:  global
        .offset:         96
        .size:           8
        .value_kind:     global_buffer
    .group_segment_fixed_size: 11264
    .kernarg_segment_align: 8
    .kernarg_segment_size: 104
    .language:       OpenCL C
    .language_version:
      - 2
      - 0
    .max_flat_workgroup_size: 128
    .name:           bluestein_single_back_len11_dim1_sp_op_CI_CI
    .private_segment_fixed_size: 0
    .sgpr_count:     80
    .sgpr_spill_count: 0
    .symbol:         bluestein_single_back_len11_dim1_sp_op_CI_CI.kd
    .uniform_work_group_size: 1
    .uses_dynamic_stack: false
    .vgpr_count:     122
    .vgpr_spill_count: 0
    .wavefront_size: 64
amdhsa.target:   amdgcn-amd-amdhsa--gfx950
amdhsa.version:
  - 1
  - 2
...

	.end_amdgpu_metadata
